;; amdgpu-corpus repo=ROCm/rocFFT kind=compiled arch=gfx1030 opt=O3
	.text
	.amdgcn_target "amdgcn-amd-amdhsa--gfx1030"
	.amdhsa_code_object_version 6
	.protected	fft_rtc_back_len256_factors_4_4_4_4_wgs_256_tpt_32_dp_op_CI_CI_sbrc_xy_z_unaligned ; -- Begin function fft_rtc_back_len256_factors_4_4_4_4_wgs_256_tpt_32_dp_op_CI_CI_sbrc_xy_z_unaligned
	.globl	fft_rtc_back_len256_factors_4_4_4_4_wgs_256_tpt_32_dp_op_CI_CI_sbrc_xy_z_unaligned
	.p2align	8
	.type	fft_rtc_back_len256_factors_4_4_4_4_wgs_256_tpt_32_dp_op_CI_CI_sbrc_xy_z_unaligned,@function
fft_rtc_back_len256_factors_4_4_4_4_wgs_256_tpt_32_dp_op_CI_CI_sbrc_xy_z_unaligned: ; @fft_rtc_back_len256_factors_4_4_4_4_wgs_256_tpt_32_dp_op_CI_CI_sbrc_xy_z_unaligned
; %bb.0:
	s_clause 0x1
	s_load_dwordx4 s[8:11], s[4:5], 0x10
	s_load_dwordx2 s[24:25], s[4:5], 0x20
	s_waitcnt lgkmcnt(0)
	s_load_dwordx4 s[0:3], s[8:9], 0x8
	s_clause 0x1
	s_load_dwordx4 s[16:19], s[10:11], 0x0
	s_load_dwordx2 s[20:21], s[10:11], 0x10
	s_waitcnt lgkmcnt(0)
	s_add_i32 s3, s2, -1
	s_lshr_b32 s3, s3, 3
	s_add_i32 s3, s3, 1
	s_mul_i32 s3, s3, s0
	v_cvt_f32_u32_e32 v1, s3
	s_sub_i32 s8, 0, s3
	v_rcp_iflag_f32_e32 v1, v1
	v_mul_f32_e32 v1, 0x4f7ffffe, v1
	v_cvt_u32_f32_e32 v1, v1
	v_readfirstlane_b32 s7, v1
	v_cvt_f32_u32_e32 v1, s0
	s_mul_i32 s8, s8, s7
	s_mul_hi_u32 s8, s7, s8
	s_add_i32 s7, s7, s8
	s_mul_hi_u32 s7, s6, s7
	s_mul_i32 s8, s7, s3
	s_add_i32 s9, s7, 1
	s_sub_i32 s8, s6, s8
	s_sub_i32 s12, s8, s3
	s_cmp_ge_u32 s8, s3
	s_cselect_b32 s7, s9, s7
	s_cselect_b32 s8, s12, s8
	s_add_i32 s9, s7, 1
	s_cmp_ge_u32 s8, s3
	s_cselect_b32 s26, s9, s7
	s_mov_b32 s7, 0
	s_mul_i32 s3, s26, s3
	s_mov_b32 s13, s7
	s_sub_i32 s12, s6, s3
	s_mov_b64 s[8:9], 0
	v_cmp_lt_u64_e64 s3, s[12:13], s[0:1]
	s_and_b32 vcc_lo, exec_lo, s3
	s_cbranch_vccnz .LBB0_2
; %bb.1:
	v_rcp_iflag_f32_e32 v2, v1
	s_sub_i32 s8, 0, s0
	v_mul_f32_e32 v2, 0x4f7ffffe, v2
	v_cvt_u32_f32_e32 v2, v2
	v_readfirstlane_b32 s3, v2
	s_mul_i32 s8, s8, s3
	s_mul_hi_u32 s8, s3, s8
	s_add_i32 s3, s3, s8
	s_mul_hi_u32 s3, s12, s3
	s_mul_i32 s8, s3, s0
	s_add_i32 s9, s3, 1
	s_sub_i32 s8, s12, s8
	s_sub_i32 s12, s8, s0
	s_cmp_ge_u32 s8, s0
	s_cselect_b32 s3, s9, s3
	s_cselect_b32 s8, s12, s8
	s_add_i32 s9, s3, 1
	s_cmp_ge_u32 s8, s0
	s_cselect_b32 s8, s9, s3
.LBB0_2:
	s_load_dwordx2 s[22:23], s[4:5], 0x58
	v_cmp_lt_u64_e64 s1, s[6:7], s[0:1]
	s_and_b32 vcc_lo, exec_lo, s1
	s_cbranch_vccnz .LBB0_4
; %bb.3:
	v_rcp_iflag_f32_e32 v1, v1
	s_sub_i32 s3, 0, s0
	v_mul_f32_e32 v1, 0x4f7ffffe, v1
	v_cvt_u32_f32_e32 v1, v1
	v_readfirstlane_b32 s1, v1
	s_mul_i32 s3, s3, s1
	s_mul_hi_u32 s3, s1, s3
	s_add_i32 s1, s1, s3
	s_mul_hi_u32 s1, s6, s1
	s_mul_i32 s1, s1, s0
	s_sub_i32 s1, s6, s1
	s_sub_i32 s3, s1, s0
	s_cmp_ge_u32 s1, s0
	s_cselect_b32 s1, s3, s1
	s_sub_i32 s3, s1, s0
	s_cmp_ge_u32 s1, s0
	s_cselect_b32 s6, s3, s1
.LBB0_4:
	s_load_dwordx4 s[12:15], s[4:5], 0x0
	s_lshl_b32 s7, s8, 3
	s_mul_i32 s3, s6, s18
	s_mul_i32 s8, s7, s20
	s_add_i32 s3, s3, s8
	s_waitcnt lgkmcnt(0)
	s_lshl_b64 s[0:1], s[14:15], 3
	s_add_u32 s8, s10, s0
	s_addc_u32 s9, s11, s1
	s_load_dwordx2 s[8:9], s[8:9], 0x0
	s_waitcnt lgkmcnt(0)
	s_mul_i32 s9, s9, s26
	s_mul_hi_u32 s10, s8, s26
	s_mul_i32 s8, s8, s26
	s_add_i32 s10, s10, s9
	s_add_u32 s18, s8, s3
	s_addc_u32 s19, s10, 0
	s_add_u32 s0, s24, s0
	s_addc_u32 s1, s25, s1
	s_clause 0x2
	s_load_dwordx4 s[8:11], s[24:25], 0x0
	s_load_dwordx2 s[14:15], s[24:25], 0x10
	s_load_dwordx2 s[0:1], s[0:1], 0x0
	s_add_i32 s3, s7, 8
	s_cmp_le_u32 s3, s2
	s_mov_b32 s3, -1
	s_waitcnt lgkmcnt(0)
	s_cselect_b32 s11, -1, 0
	s_and_b32 vcc_lo, exec_lo, s11
	s_cbranch_vccnz .LBB0_9
; %bb.5:
	s_cmp_lt_u32 s7, s2
	s_cselect_b32 s15, -1, 0
	s_and_saveexec_b32 s3, s15
	s_cbranch_execz .LBB0_8
; %bb.6:
	v_mad_u64_u32 v[1:2], null, s16, v0, 0
	s_lshl_b64 s[24:25], s[18:19], 4
	s_add_u32 s15, s22, s24
	s_addc_u32 s21, s23, s25
	v_mad_u64_u32 v[2:3], null, s17, v0, v[2:3]
	v_lshl_add_u32 v3, v0, 4, 0
	v_lshlrev_b64 v[4:5], 4, v[1:2]
	v_mov_b32_e32 v2, 0
	v_mov_b32_e32 v1, v2
	v_add_co_u32 v4, vcc_lo, s15, v4
	v_add_co_ci_u32_e32 v5, vcc_lo, s21, v5, vcc_lo
	s_mov_b32 s15, 0
	s_mov_b32 s21, 0
	.p2align	6
.LBB0_7:                                ; =>This Inner Loop Header: Depth=1
	v_lshlrev_b64 v[6:7], 4, v[1:2]
	s_add_i32 s21, s21, 1
	v_add_nc_u32_e32 v1, s20, v1
	v_add_nc_u32_e64 v10, s7, s21
	v_add_co_u32 v6, vcc_lo, v4, v6
	v_add_co_ci_u32_e32 v7, vcc_lo, v5, v7, vcc_lo
	v_cmp_le_u32_e32 vcc_lo, s2, v10
	global_load_dwordx4 v[6:9], v[6:7], off
	s_or_b32 s15, vcc_lo, s15
	s_waitcnt vmcnt(0)
	ds_write_b128 v3, v[6:9]
	v_add_nc_u32_e32 v3, 0x1000, v3
	s_andn2_b32 exec_lo, exec_lo, s15
	s_cbranch_execnz .LBB0_7
.LBB0_8:
	s_or_b32 exec_lo, exec_lo, s3
	s_mov_b32 s3, 0
.LBB0_9:
	s_andn2_b32 vcc_lo, exec_lo, s3
	s_cbranch_vccnz .LBB0_11
; %bb.10:
	v_mad_u64_u32 v[1:2], null, s16, v0, 0
	s_mov_b32 s21, 0
	v_lshl_add_u32 v33, v0, 4, 0
	s_mov_b32 s25, s21
	s_mov_b32 s29, s21
	;; [unrolled: 1-line block ×3, first 2 shown]
	v_mad_u64_u32 v[2:3], null, s17, v0, v[2:3]
	s_lshl_b64 s[16:17], s[18:19], 4
	s_mov_b32 s19, s21
	s_add_u32 s3, s22, s16
	s_addc_u32 s15, s23, s17
	s_lshl_b64 s[16:17], s[20:21], 4
	s_add_i32 s18, s20, s20
	v_lshlrev_b64 v[1:2], 4, v[1:2]
	s_add_i32 s24, s18, s20
	s_lshl_b64 s[18:19], s[18:19], 4
	s_lshl_b64 s[22:23], s[24:25], 4
	s_add_i32 s28, s24, s20
	s_lshl_b64 s[24:25], s[28:29], 4
	v_add_co_u32 v9, vcc_lo, s3, v1
	v_add_co_ci_u32_e32 v10, vcc_lo, s15, v2, vcc_lo
	s_add_i32 s30, s28, s20
	v_add_co_u32 v5, vcc_lo, v9, s16
	v_add_co_ci_u32_e32 v6, vcc_lo, s17, v10, vcc_lo
	v_add_co_u32 v11, vcc_lo, v9, s18
	v_add_co_ci_u32_e32 v12, vcc_lo, s19, v10, vcc_lo
	;; [unrolled: 2-line block ×3, first 2 shown]
	v_add_co_u32 v17, vcc_lo, v9, s24
	s_lshl_b64 s[16:17], s[30:31], 4
	v_add_co_ci_u32_e32 v18, vcc_lo, s25, v10, vcc_lo
	s_add_i32 s18, s30, s20
	s_mov_b32 s19, s21
	v_add_co_u32 v21, vcc_lo, v9, s16
	v_add_co_ci_u32_e32 v22, vcc_lo, s17, v10, vcc_lo
	s_lshl_b64 s[16:17], s[18:19], 4
	s_add_i32 s20, s18, s20
	v_add_co_u32 v25, vcc_lo, v9, s16
	v_add_co_ci_u32_e32 v26, vcc_lo, s17, v10, vcc_lo
	s_lshl_b64 s[16:17], s[20:21], 4
	s_clause 0x1
	global_load_dwordx4 v[1:4], v[9:10], off
	global_load_dwordx4 v[5:8], v[5:6], off
	v_add_co_u32 v29, vcc_lo, v9, s16
	v_add_co_ci_u32_e32 v30, vcc_lo, s17, v10, vcc_lo
	s_clause 0x5
	global_load_dwordx4 v[9:12], v[11:12], off
	global_load_dwordx4 v[13:16], v[13:14], off
	;; [unrolled: 1-line block ×6, first 2 shown]
	s_waitcnt vmcnt(7)
	ds_write_b128 v33, v[1:4]
	s_waitcnt vmcnt(6)
	ds_write_b128 v33, v[5:8] offset:4096
	s_waitcnt vmcnt(5)
	ds_write_b128 v33, v[9:12] offset:8192
	s_waitcnt vmcnt(4)
	ds_write_b128 v33, v[13:16] offset:12288
	s_waitcnt vmcnt(3)
	ds_write_b128 v33, v[17:20] offset:16384
	s_waitcnt vmcnt(2)
	ds_write_b128 v33, v[21:24] offset:20480
	s_waitcnt vmcnt(1)
	ds_write_b128 v33, v[25:28] offset:24576
	s_waitcnt vmcnt(0)
	ds_write_b128 v33, v[29:32] offset:28672
.LBB0_11:
	v_lshlrev_b32_e32 v1, 7, v0
	v_and_b32_e32 v3, 31, v0
	s_waitcnt lgkmcnt(0)
	s_barrier
	buffer_gl0_inv
	v_and_b32_e32 v1, 0x7000, v1
	v_lshlrev_b32_e32 v2, 4, v3
	v_and_b32_e32 v55, 3, v0
	v_or_b32_e32 v56, 32, v3
	v_and_b32_e32 v57, 15, v0
	v_add_nc_u32_e32 v4, 0, v1
	v_add3_u32 v1, 0, v2, v1
	v_lshlrev_b32_e32 v58, 2, v3
	v_add_nc_u32_e32 v2, v4, v2
	ds_read_b128 v[5:8], v1 offset:3072
	ds_read_b128 v[9:12], v1 offset:1024
	ds_read_b128 v[13:16], v1 offset:1536
	ds_read_b128 v[17:20], v1 offset:3584
	ds_read_b128 v[21:24], v2
	ds_read_b128 v[25:28], v1 offset:2048
	ds_read_b128 v[29:32], v1 offset:2560
	;; [unrolled: 1-line block ×3, first 2 shown]
	s_waitcnt lgkmcnt(0)
	s_barrier
	buffer_gl0_inv
	v_add_f64 v[37:38], v[9:10], -v[5:6]
	v_add_f64 v[5:6], v[11:12], -v[7:8]
	;; [unrolled: 1-line block ×8, first 2 shown]
	v_fma_f64 v[19:20], v[9:10], 2.0, -v[37:38]
	v_fma_f64 v[11:12], v[11:12], 2.0, -v[5:6]
	;; [unrolled: 1-line block ×8, first 2 shown]
	v_add_f64 v[5:6], v[25:26], v[5:6]
	v_add_f64 v[7:8], v[27:28], -v[37:38]
	v_add_f64 v[9:10], v[29:30], v[17:18]
	v_mul_u32_u24_e32 v37, 3, v55
	v_mad_u32_u24 v38, v3, 48, v1
	v_mul_u32_u24_e32 v3, 3, v3
	v_lshlrev_b32_e32 v37, 4, v37
	v_add_f64 v[13:14], v[45:46], -v[19:20]
	v_add_f64 v[15:16], v[47:48], -v[11:12]
	;; [unrolled: 1-line block ×5, first 2 shown]
	v_fma_f64 v[21:22], v[25:26], 2.0, -v[5:6]
	v_fma_f64 v[23:24], v[27:28], 2.0, -v[7:8]
	;; [unrolled: 1-line block ×3, first 2 shown]
	v_lshl_add_u32 v39, v56, 6, v4
	v_lshlrev_b32_e32 v56, 2, v56
	v_fma_f64 v[29:30], v[45:46], 2.0, -v[13:14]
	v_fma_f64 v[31:32], v[47:48], 2.0, -v[15:16]
	;; [unrolled: 1-line block ×5, first 2 shown]
	ds_write_b128 v38, v[5:8] offset:48
	ds_write_b128 v38, v[21:24] offset:16
	;; [unrolled: 1-line block ×3, first 2 shown]
	ds_write_b128 v38, v[29:32]
	ds_write_b128 v39, v[33:36]
	ds_write_b128 v39, v[25:28] offset:16
	ds_write_b128 v39, v[17:20] offset:32
	ds_write_b128 v39, v[9:12] offset:48
	s_waitcnt lgkmcnt(0)
	s_barrier
	buffer_gl0_inv
	s_clause 0x2
	global_load_dwordx4 v[5:8], v37, s[12:13]
	global_load_dwordx4 v[9:12], v37, s[12:13] offset:16
	global_load_dwordx4 v[13:16], v37, s[12:13] offset:32
	ds_read_b128 v[17:20], v1 offset:1024
	ds_read_b128 v[21:24], v1 offset:2048
	;; [unrolled: 1-line block ×6, first 2 shown]
	s_waitcnt vmcnt(2) lgkmcnt(5)
	v_mul_f64 v[43:44], v[17:18], v[7:8]
	s_waitcnt vmcnt(1) lgkmcnt(4)
	v_mul_f64 v[45:46], v[23:24], v[11:12]
	v_mul_f64 v[47:48], v[21:22], v[11:12]
	;; [unrolled: 1-line block ×3, first 2 shown]
	s_waitcnt vmcnt(0) lgkmcnt(3)
	v_mul_f64 v[49:50], v[27:28], v[15:16]
	v_mul_f64 v[51:52], v[25:26], v[15:16]
	s_waitcnt lgkmcnt(2)
	v_mul_f64 v[53:54], v[31:32], v[7:8]
	v_mul_f64 v[7:8], v[29:30], v[7:8]
	v_fma_f64 v[19:20], v[19:20], v[5:6], -v[43:44]
	s_waitcnt lgkmcnt(1)
	v_mul_f64 v[43:44], v[35:36], v[11:12]
	v_mul_f64 v[11:12], v[33:34], v[11:12]
	v_fma_f64 v[21:22], v[21:22], v[9:10], v[45:46]
	v_fma_f64 v[23:24], v[23:24], v[9:10], -v[47:48]
	s_waitcnt lgkmcnt(0)
	v_mul_f64 v[45:46], v[39:40], v[15:16]
	v_mul_f64 v[47:48], v[37:38], v[15:16]
	v_fma_f64 v[41:42], v[17:18], v[5:6], v[41:42]
	v_fma_f64 v[25:26], v[25:26], v[13:14], v[49:50]
	v_fma_f64 v[27:28], v[27:28], v[13:14], -v[51:52]
	v_fma_f64 v[29:30], v[29:30], v[5:6], v[53:54]
	v_fma_f64 v[31:32], v[31:32], v[5:6], -v[7:8]
	ds_read_b128 v[5:8], v2
	ds_read_b128 v[15:18], v1 offset:512
	s_waitcnt lgkmcnt(0)
	s_barrier
	buffer_gl0_inv
	v_fma_f64 v[33:34], v[33:34], v[9:10], v[43:44]
	v_fma_f64 v[9:10], v[35:36], v[9:10], -v[11:12]
	v_fma_f64 v[11:12], v[37:38], v[13:14], v[45:46]
	v_fma_f64 v[13:14], v[39:40], v[13:14], -v[47:48]
	v_add_f64 v[25:26], v[41:42], -v[25:26]
	v_add_f64 v[21:22], v[5:6], -v[21:22]
	;; [unrolled: 1-line block ×8, first 2 shown]
	v_fma_f64 v[13:14], v[41:42], 2.0, -v[25:26]
	v_fma_f64 v[37:38], v[5:6], 2.0, -v[21:22]
	;; [unrolled: 1-line block ×4, first 2 shown]
	v_add_f64 v[5:6], v[21:22], v[27:28]
	v_add_f64 v[7:8], v[23:24], -v[25:26]
	v_fma_f64 v[41:42], v[15:16], 2.0, -v[33:34]
	v_fma_f64 v[43:44], v[17:18], 2.0, -v[35:36]
	;; [unrolled: 1-line block ×4, first 2 shown]
	v_add_f64 v[9:10], v[33:34], v[9:10]
	v_add_f64 v[11:12], v[35:36], -v[11:12]
	v_add_f64 v[13:14], v[37:38], -v[13:14]
	;; [unrolled: 1-line block ×3, first 2 shown]
	v_fma_f64 v[21:22], v[21:22], 2.0, -v[5:6]
	v_fma_f64 v[23:24], v[23:24], 2.0, -v[7:8]
	v_add_f64 v[17:18], v[41:42], -v[17:18]
	v_add_f64 v[19:20], v[43:44], -v[29:30]
	v_fma_f64 v[25:26], v[33:34], 2.0, -v[9:10]
	v_fma_f64 v[27:28], v[35:36], 2.0, -v[11:12]
	;; [unrolled: 1-line block ×3, first 2 shown]
	v_mul_u32_u24_e32 v37, 3, v57
	v_fma_f64 v[31:32], v[39:40], 2.0, -v[15:16]
	v_and_or_b32 v38, 0x70, v58, v55
	v_and_or_b32 v39, 0xf0, v56, v55
	v_lshlrev_b32_e32 v37, 4, v37
	v_lshl_add_u32 v38, v38, 4, v4
	v_lshl_add_u32 v39, v39, 4, v4
	v_fma_f64 v[33:34], v[41:42], 2.0, -v[17:18]
	v_fma_f64 v[35:36], v[43:44], 2.0, -v[19:20]
	ds_write_b128 v38, v[5:8] offset:192
	ds_write_b128 v39, v[9:12] offset:192
	;; [unrolled: 1-line block ×6, first 2 shown]
	ds_write_b128 v38, v[29:32]
	ds_write_b128 v39, v[33:36]
	s_waitcnt lgkmcnt(0)
	s_barrier
	buffer_gl0_inv
	s_clause 0x2
	global_load_dwordx4 v[5:8], v37, s[12:13] offset:192
	global_load_dwordx4 v[9:12], v37, s[12:13] offset:208
	;; [unrolled: 1-line block ×3, first 2 shown]
	ds_read_b128 v[17:20], v1 offset:1024
	ds_read_b128 v[21:24], v1 offset:2048
	ds_read_b128 v[25:28], v1 offset:3072
	ds_read_b128 v[29:32], v1 offset:1536
	ds_read_b128 v[33:36], v1 offset:2560
	ds_read_b128 v[37:40], v1 offset:3584
	s_waitcnt vmcnt(2) lgkmcnt(5)
	v_mul_f64 v[43:44], v[17:18], v[7:8]
	s_waitcnt vmcnt(1) lgkmcnt(4)
	v_mul_f64 v[45:46], v[23:24], v[11:12]
	v_mul_f64 v[47:48], v[21:22], v[11:12]
	v_mul_f64 v[41:42], v[19:20], v[7:8]
	s_waitcnt vmcnt(0) lgkmcnt(3)
	v_mul_f64 v[49:50], v[27:28], v[15:16]
	v_mul_f64 v[51:52], v[25:26], v[15:16]
	s_waitcnt lgkmcnt(2)
	v_mul_f64 v[53:54], v[31:32], v[7:8]
	v_mul_f64 v[7:8], v[29:30], v[7:8]
	v_fma_f64 v[19:20], v[19:20], v[5:6], -v[43:44]
	s_waitcnt lgkmcnt(1)
	v_mul_f64 v[43:44], v[35:36], v[11:12]
	v_mul_f64 v[11:12], v[33:34], v[11:12]
	v_fma_f64 v[21:22], v[21:22], v[9:10], v[45:46]
	v_fma_f64 v[23:24], v[23:24], v[9:10], -v[47:48]
	s_waitcnt lgkmcnt(0)
	v_mul_f64 v[45:46], v[39:40], v[15:16]
	v_mul_f64 v[47:48], v[37:38], v[15:16]
	v_fma_f64 v[41:42], v[17:18], v[5:6], v[41:42]
	v_fma_f64 v[25:26], v[25:26], v[13:14], v[49:50]
	v_fma_f64 v[27:28], v[27:28], v[13:14], -v[51:52]
	v_fma_f64 v[29:30], v[29:30], v[5:6], v[53:54]
	v_fma_f64 v[31:32], v[31:32], v[5:6], -v[7:8]
	ds_read_b128 v[5:8], v2
	ds_read_b128 v[15:18], v1 offset:512
	s_waitcnt lgkmcnt(0)
	s_barrier
	buffer_gl0_inv
	v_fma_f64 v[33:34], v[33:34], v[9:10], v[43:44]
	v_fma_f64 v[9:10], v[35:36], v[9:10], -v[11:12]
	v_fma_f64 v[11:12], v[37:38], v[13:14], v[45:46]
	v_fma_f64 v[13:14], v[39:40], v[13:14], -v[47:48]
	v_add_f64 v[25:26], v[41:42], -v[25:26]
	v_add_f64 v[21:22], v[5:6], -v[21:22]
	;; [unrolled: 1-line block ×8, first 2 shown]
	v_fma_f64 v[13:14], v[41:42], 2.0, -v[25:26]
	v_fma_f64 v[37:38], v[5:6], 2.0, -v[21:22]
	;; [unrolled: 1-line block ×4, first 2 shown]
	v_add_f64 v[5:6], v[21:22], v[27:28]
	v_add_f64 v[7:8], v[23:24], -v[25:26]
	v_fma_f64 v[41:42], v[15:16], 2.0, -v[33:34]
	v_fma_f64 v[43:44], v[17:18], 2.0, -v[35:36]
	;; [unrolled: 1-line block ×4, first 2 shown]
	v_add_f64 v[9:10], v[33:34], v[9:10]
	v_add_f64 v[11:12], v[35:36], -v[11:12]
	v_add_f64 v[13:14], v[37:38], -v[13:14]
	;; [unrolled: 1-line block ×3, first 2 shown]
	v_fma_f64 v[21:22], v[21:22], 2.0, -v[5:6]
	v_fma_f64 v[23:24], v[23:24], 2.0, -v[7:8]
	v_add_f64 v[17:18], v[41:42], -v[17:18]
	v_add_f64 v[19:20], v[43:44], -v[29:30]
	v_fma_f64 v[25:26], v[33:34], 2.0, -v[9:10]
	v_fma_f64 v[27:28], v[35:36], 2.0, -v[11:12]
	;; [unrolled: 1-line block ×3, first 2 shown]
	v_and_or_b32 v37, v58, 64, v57
	v_fma_f64 v[31:32], v[39:40], 2.0, -v[15:16]
	v_and_or_b32 v38, 0xc0, v56, v57
	v_lshlrev_b32_e32 v39, 4, v3
	v_lshl_add_u32 v3, v37, 4, v4
	v_lshl_add_u32 v4, v38, 4, v4
	v_fma_f64 v[33:34], v[41:42], 2.0, -v[17:18]
	v_fma_f64 v[35:36], v[43:44], 2.0, -v[19:20]
	ds_write_b128 v3, v[5:8] offset:768
	ds_write_b128 v4, v[9:12] offset:768
	ds_write_b128 v3, v[21:24] offset:256
	ds_write_b128 v3, v[13:16] offset:512
	ds_write_b128 v4, v[25:28] offset:256
	ds_write_b128 v4, v[17:20] offset:512
	ds_write_b128 v3, v[29:32]
	ds_write_b128 v4, v[33:36]
	s_waitcnt lgkmcnt(0)
	s_barrier
	buffer_gl0_inv
	s_clause 0x1
	global_load_dwordx4 v[3:6], v39, s[12:13] offset:960
	global_load_dwordx4 v[7:10], v39, s[12:13] offset:976
	v_add_co_u32 v17, s3, s12, v39
	v_add_co_ci_u32_e64 v18, null, s13, 0, s3
	global_load_dwordx4 v[11:14], v39, s[12:13] offset:992
	v_add_co_u32 v15, vcc_lo, 0x800, v17
	v_add_co_ci_u32_e32 v16, vcc_lo, 0, v18, vcc_lo
	v_add_co_u32 v23, vcc_lo, 0x9c0, v17
	v_add_co_ci_u32_e32 v24, vcc_lo, 0, v18, vcc_lo
	s_clause 0x2
	global_load_dwordx4 v[15:18], v[15:16], off offset:448
	global_load_dwordx4 v[19:22], v[23:24], off offset:16
	;; [unrolled: 1-line block ×3, first 2 shown]
	ds_read_b128 v[27:30], v1 offset:1024
	ds_read_b128 v[31:34], v1 offset:2048
	;; [unrolled: 1-line block ×6, first 2 shown]
	s_mov_b32 s3, 0
	s_waitcnt vmcnt(5) lgkmcnt(5)
	v_mul_f64 v[51:52], v[29:30], v[5:6]
	v_mul_f64 v[5:6], v[27:28], v[5:6]
	s_waitcnt vmcnt(4) lgkmcnt(4)
	v_mul_f64 v[53:54], v[33:34], v[9:10]
	v_mul_f64 v[9:10], v[31:32], v[9:10]
	v_fma_f64 v[27:28], v[27:28], v[3:4], v[51:52]
	v_fma_f64 v[29:30], v[29:30], v[3:4], -v[5:6]
	s_waitcnt vmcnt(3) lgkmcnt(2)
	v_mul_f64 v[3:4], v[41:42], v[13:14]
	v_mul_f64 v[5:6], v[39:40], v[13:14]
	s_waitcnt vmcnt(2)
	v_mul_f64 v[13:14], v[37:38], v[17:18]
	v_mul_f64 v[17:18], v[35:36], v[17:18]
	v_fma_f64 v[31:32], v[31:32], v[7:8], v[53:54]
	s_waitcnt vmcnt(1) lgkmcnt(1)
	v_mul_f64 v[51:52], v[45:46], v[21:22]
	v_mul_f64 v[21:22], v[43:44], v[21:22]
	s_waitcnt vmcnt(0) lgkmcnt(0)
	v_mul_f64 v[53:54], v[49:50], v[25:26]
	v_mul_f64 v[25:26], v[47:48], v[25:26]
	v_fma_f64 v[33:34], v[33:34], v[7:8], -v[9:10]
	v_fma_f64 v[39:40], v[39:40], v[11:12], v[3:4]
	v_fma_f64 v[10:11], v[41:42], v[11:12], -v[5:6]
	v_fma_f64 v[12:13], v[35:36], v[15:16], v[13:14]
	v_fma_f64 v[14:15], v[37:38], v[15:16], -v[17:18]
	ds_read_b128 v[2:5], v2
	ds_read_b128 v[6:9], v1 offset:512
	v_fma_f64 v[16:17], v[43:44], v[19:20], v[51:52]
	v_fma_f64 v[18:19], v[45:46], v[19:20], -v[21:22]
	v_fma_f64 v[20:21], v[47:48], v[23:24], v[53:54]
	v_fma_f64 v[22:23], v[49:50], v[23:24], -v[25:26]
	s_waitcnt lgkmcnt(0)
	s_barrier
	buffer_gl0_inv
	v_add_f64 v[24:25], v[2:3], -v[31:32]
	v_add_f64 v[31:32], v[4:5], -v[33:34]
	;; [unrolled: 1-line block ×8, first 2 shown]
	v_fma_f64 v[39:40], v[2:3], 2.0, -v[24:25]
	v_fma_f64 v[41:42], v[4:5], 2.0, -v[31:32]
	;; [unrolled: 1-line block ×8, first 2 shown]
	v_add_f64 v[3:4], v[24:25], v[10:11]
	v_add_f64 v[5:6], v[31:32], -v[33:34]
	v_add_f64 v[7:8], v[35:36], v[18:19]
	v_add_f64 v[9:10], v[37:38], -v[16:17]
	v_and_b32_e32 v2, 7, v0
	v_add_f64 v[11:12], v[39:40], -v[20:21]
	v_add_f64 v[13:14], v[41:42], -v[22:23]
	;; [unrolled: 1-line block ×4, first 2 shown]
	v_fma_f64 v[19:20], v[24:25], 2.0, -v[3:4]
	v_fma_f64 v[21:22], v[31:32], 2.0, -v[5:6]
	;; [unrolled: 1-line block ×4, first 2 shown]
	v_or_b32_e32 v35, s7, v2
	v_cmp_gt_u32_e32 vcc_lo, s2, v35
	s_or_b32 s2, s11, vcc_lo
	v_fma_f64 v[27:28], v[39:40], 2.0, -v[11:12]
	v_fma_f64 v[29:30], v[41:42], 2.0, -v[13:14]
	;; [unrolled: 1-line block ×4, first 2 shown]
	ds_write_b128 v1, v[3:6] offset:3072
	ds_write_b128 v1, v[7:10] offset:3584
	;; [unrolled: 1-line block ×6, first 2 shown]
	ds_write_b128 v1, v[27:30]
	ds_write_b128 v1, v[31:34] offset:512
	s_waitcnt lgkmcnt(0)
	s_barrier
	buffer_gl0_inv
	s_and_saveexec_b32 s11, s2
	s_cbranch_execz .LBB0_13
; %bb.12:
	v_mad_u64_u32 v[3:4], null, s8, v2, 0
	s_load_dwordx2 s[4:5], s[4:5], 0x60
	v_lshlrev_b32_e32 v24, 12, v2
	s_mul_i32 s11, s9, s7
	s_mul_hi_u32 s12, s8, s7
	s_mul_i32 s2, s6, s14
	s_mul_i32 s6, s8, s7
	v_mov_b32_e32 v1, v4
	v_lshrrev_b32_e32 v4, 3, v0
	s_add_i32 s7, s12, s11
	s_mul_i32 s1, s1, s26
	s_mul_hi_u32 s8, s0, s26
	v_mad_u64_u32 v[0:1], null, s9, v2, v[1:2]
	v_lshlrev_b32_e32 v25, 4, v4
	v_mul_lo_u32 v20, v4, s10
	s_lshl_b64 s[6:7], s[6:7], 4
	s_add_i32 s1, s8, s1
	s_mul_i32 s0, s0, s26
	v_or_b32_e32 v1, v24, v25
	v_mov_b32_e32 v4, v0
	s_waitcnt lgkmcnt(0)
	s_add_u32 s4, s4, s6
	s_addc_u32 s5, s5, s7
	s_lshl_b64 s[2:3], s[2:3], 4
	v_add_nc_u32_e32 v28, 0, v1
	v_lshlrev_b64 v[0:1], 4, v[3:4]
	s_add_u32 s2, s4, s2
	s_addc_u32 s3, s5, s3
	s_lshl_b64 s[0:1], s[0:1], 4
	v_mov_b32_e32 v21, 0
	s_add_u32 s0, s2, s0
	s_addc_u32 s1, s3, s1
	s_lshl_b32 s2, s10, 5
	v_add_co_u32 v30, vcc_lo, s0, v0
	v_lshlrev_b64 v[12:13], 4, v[20:21]
	v_add_nc_u32_e32 v20, s2, v20
	v_add_co_ci_u32_e32 v31, vcc_lo, s1, v1, vcc_lo
	ds_read_b128 v[0:3], v28
	ds_read_b128 v[4:7], v28 offset:512
	ds_read_b128 v[8:11], v28 offset:1024
	v_lshlrev_b64 v[14:15], 4, v[20:21]
	v_add_nc_u32_e32 v20, s2, v20
	v_add_co_u32 v12, vcc_lo, v30, v12
	v_add_co_ci_u32_e32 v13, vcc_lo, v31, v13, vcc_lo
	v_lshlrev_b64 v[16:17], 4, v[20:21]
	v_add_nc_u32_e32 v20, s2, v20
	v_add_co_u32 v14, vcc_lo, v30, v14
	v_add_co_ci_u32_e32 v15, vcc_lo, v31, v15, vcc_lo
	;; [unrolled: 4-line block ×3, first 2 shown]
	s_waitcnt lgkmcnt(2)
	global_store_dwordx4 v[12:13], v[0:3], off
	s_waitcnt lgkmcnt(1)
	global_store_dwordx4 v[14:15], v[4:7], off
	v_lshlrev_b64 v[4:5], 4, v[20:21]
	v_add_co_u32 v22, vcc_lo, v30, v18
	s_waitcnt lgkmcnt(0)
	global_store_dwordx4 v[16:17], v[8:11], off
	v_add_nc_u32_e32 v20, s2, v20
	v_add3_u32 v16, 0, v24, v25
	v_add_co_ci_u32_e32 v23, vcc_lo, v31, v19, vcc_lo
	v_add_co_u32 v24, vcc_lo, v30, v4
	ds_read_b128 v[0:3], v28 offset:1536
	v_add_co_ci_u32_e32 v25, vcc_lo, v31, v5, vcc_lo
	ds_read_b128 v[4:7], v28 offset:2048
	ds_read_b128 v[8:11], v16 offset:2560
	;; [unrolled: 1-line block ×4, first 2 shown]
	v_lshlrev_b64 v[26:27], 4, v[20:21]
	v_add_nc_u32_e32 v20, s2, v20
	v_lshlrev_b64 v[28:29], 4, v[20:21]
	v_add_nc_u32_e32 v20, s2, v20
	v_add_co_u32 v26, vcc_lo, v30, v26
	v_add_co_ci_u32_e32 v27, vcc_lo, v31, v27, vcc_lo
	v_lshlrev_b64 v[20:21], 4, v[20:21]
	v_add_co_u32 v28, vcc_lo, v30, v28
	v_add_co_ci_u32_e32 v29, vcc_lo, v31, v29, vcc_lo
	v_add_co_u32 v20, vcc_lo, v30, v20
	v_add_co_ci_u32_e32 v21, vcc_lo, v31, v21, vcc_lo
	s_waitcnt lgkmcnt(4)
	global_store_dwordx4 v[22:23], v[0:3], off
	s_waitcnt lgkmcnt(3)
	global_store_dwordx4 v[24:25], v[4:7], off
	;; [unrolled: 2-line block ×5, first 2 shown]
.LBB0_13:
	s_endpgm
	.section	.rodata,"a",@progbits
	.p2align	6, 0x0
	.amdhsa_kernel fft_rtc_back_len256_factors_4_4_4_4_wgs_256_tpt_32_dp_op_CI_CI_sbrc_xy_z_unaligned
		.amdhsa_group_segment_fixed_size 0
		.amdhsa_private_segment_fixed_size 0
		.amdhsa_kernarg_size 104
		.amdhsa_user_sgpr_count 6
		.amdhsa_user_sgpr_private_segment_buffer 1
		.amdhsa_user_sgpr_dispatch_ptr 0
		.amdhsa_user_sgpr_queue_ptr 0
		.amdhsa_user_sgpr_kernarg_segment_ptr 1
		.amdhsa_user_sgpr_dispatch_id 0
		.amdhsa_user_sgpr_flat_scratch_init 0
		.amdhsa_user_sgpr_private_segment_size 0
		.amdhsa_wavefront_size32 1
		.amdhsa_uses_dynamic_stack 0
		.amdhsa_system_sgpr_private_segment_wavefront_offset 0
		.amdhsa_system_sgpr_workgroup_id_x 1
		.amdhsa_system_sgpr_workgroup_id_y 0
		.amdhsa_system_sgpr_workgroup_id_z 0
		.amdhsa_system_sgpr_workgroup_info 0
		.amdhsa_system_vgpr_workitem_id 0
		.amdhsa_next_free_vgpr 59
		.amdhsa_next_free_sgpr 32
		.amdhsa_reserve_vcc 1
		.amdhsa_reserve_flat_scratch 0
		.amdhsa_float_round_mode_32 0
		.amdhsa_float_round_mode_16_64 0
		.amdhsa_float_denorm_mode_32 3
		.amdhsa_float_denorm_mode_16_64 3
		.amdhsa_dx10_clamp 1
		.amdhsa_ieee_mode 1
		.amdhsa_fp16_overflow 0
		.amdhsa_workgroup_processor_mode 1
		.amdhsa_memory_ordered 1
		.amdhsa_forward_progress 0
		.amdhsa_shared_vgpr_count 0
		.amdhsa_exception_fp_ieee_invalid_op 0
		.amdhsa_exception_fp_denorm_src 0
		.amdhsa_exception_fp_ieee_div_zero 0
		.amdhsa_exception_fp_ieee_overflow 0
		.amdhsa_exception_fp_ieee_underflow 0
		.amdhsa_exception_fp_ieee_inexact 0
		.amdhsa_exception_int_div_zero 0
	.end_amdhsa_kernel
	.text
.Lfunc_end0:
	.size	fft_rtc_back_len256_factors_4_4_4_4_wgs_256_tpt_32_dp_op_CI_CI_sbrc_xy_z_unaligned, .Lfunc_end0-fft_rtc_back_len256_factors_4_4_4_4_wgs_256_tpt_32_dp_op_CI_CI_sbrc_xy_z_unaligned
                                        ; -- End function
	.section	.AMDGPU.csdata,"",@progbits
; Kernel info:
; codeLenInByte = 4292
; NumSgprs: 34
; NumVgprs: 59
; ScratchSize: 0
; MemoryBound: 0
; FloatMode: 240
; IeeeMode: 1
; LDSByteSize: 0 bytes/workgroup (compile time only)
; SGPRBlocks: 4
; VGPRBlocks: 7
; NumSGPRsForWavesPerEU: 34
; NumVGPRsForWavesPerEU: 59
; Occupancy: 16
; WaveLimiterHint : 1
; COMPUTE_PGM_RSRC2:SCRATCH_EN: 0
; COMPUTE_PGM_RSRC2:USER_SGPR: 6
; COMPUTE_PGM_RSRC2:TRAP_HANDLER: 0
; COMPUTE_PGM_RSRC2:TGID_X_EN: 1
; COMPUTE_PGM_RSRC2:TGID_Y_EN: 0
; COMPUTE_PGM_RSRC2:TGID_Z_EN: 0
; COMPUTE_PGM_RSRC2:TIDIG_COMP_CNT: 0
	.text
	.p2alignl 6, 3214868480
	.fill 48, 4, 3214868480
	.type	__hip_cuid_83facbdcca117cbd,@object ; @__hip_cuid_83facbdcca117cbd
	.section	.bss,"aw",@nobits
	.globl	__hip_cuid_83facbdcca117cbd
__hip_cuid_83facbdcca117cbd:
	.byte	0                               ; 0x0
	.size	__hip_cuid_83facbdcca117cbd, 1

	.ident	"AMD clang version 19.0.0git (https://github.com/RadeonOpenCompute/llvm-project roc-6.4.0 25133 c7fe45cf4b819c5991fe208aaa96edf142730f1d)"
	.section	".note.GNU-stack","",@progbits
	.addrsig
	.addrsig_sym __hip_cuid_83facbdcca117cbd
	.amdgpu_metadata
---
amdhsa.kernels:
  - .args:
      - .actual_access:  read_only
        .address_space:  global
        .offset:         0
        .size:           8
        .value_kind:     global_buffer
      - .offset:         8
        .size:           8
        .value_kind:     by_value
      - .actual_access:  read_only
        .address_space:  global
        .offset:         16
        .size:           8
        .value_kind:     global_buffer
      - .actual_access:  read_only
        .address_space:  global
        .offset:         24
        .size:           8
        .value_kind:     global_buffer
      - .actual_access:  read_only
        .address_space:  global
        .offset:         32
        .size:           8
        .value_kind:     global_buffer
      - .offset:         40
        .size:           8
        .value_kind:     by_value
      - .actual_access:  read_only
        .address_space:  global
        .offset:         48
        .size:           8
        .value_kind:     global_buffer
      - .actual_access:  read_only
        .address_space:  global
        .offset:         56
        .size:           8
        .value_kind:     global_buffer
      - .offset:         64
        .size:           4
        .value_kind:     by_value
      - .actual_access:  read_only
        .address_space:  global
        .offset:         72
        .size:           8
        .value_kind:     global_buffer
      - .actual_access:  read_only
        .address_space:  global
        .offset:         80
        .size:           8
        .value_kind:     global_buffer
      - .actual_access:  read_only
        .address_space:  global
        .offset:         88
        .size:           8
        .value_kind:     global_buffer
      - .actual_access:  write_only
        .address_space:  global
        .offset:         96
        .size:           8
        .value_kind:     global_buffer
    .group_segment_fixed_size: 0
    .kernarg_segment_align: 8
    .kernarg_segment_size: 104
    .language:       OpenCL C
    .language_version:
      - 2
      - 0
    .max_flat_workgroup_size: 256
    .name:           fft_rtc_back_len256_factors_4_4_4_4_wgs_256_tpt_32_dp_op_CI_CI_sbrc_xy_z_unaligned
    .private_segment_fixed_size: 0
    .sgpr_count:     34
    .sgpr_spill_count: 0
    .symbol:         fft_rtc_back_len256_factors_4_4_4_4_wgs_256_tpt_32_dp_op_CI_CI_sbrc_xy_z_unaligned.kd
    .uniform_work_group_size: 1
    .uses_dynamic_stack: false
    .vgpr_count:     59
    .vgpr_spill_count: 0
    .wavefront_size: 32
    .workgroup_processor_mode: 1
amdhsa.target:   amdgcn-amd-amdhsa--gfx1030
amdhsa.version:
  - 1
  - 2
...

	.end_amdgpu_metadata
